;; amdgpu-corpus repo=pytorch/pytorch kind=compiled arch=gfx1100 opt=O3
	.text
	.amdgcn_target "amdgcn-amd-amdhsa--gfx1100"
	.amdhsa_code_object_version 6
	.section	.text._ZN2at6native12_GLOBAL__N_123philox_key_split_kernelEPKmPmll,"axG",@progbits,_ZN2at6native12_GLOBAL__N_123philox_key_split_kernelEPKmPmll,comdat
	.globl	_ZN2at6native12_GLOBAL__N_123philox_key_split_kernelEPKmPmll ; -- Begin function _ZN2at6native12_GLOBAL__N_123philox_key_split_kernelEPKmPmll
	.p2align	8
	.type	_ZN2at6native12_GLOBAL__N_123philox_key_split_kernelEPKmPmll,@function
_ZN2at6native12_GLOBAL__N_123philox_key_split_kernelEPKmPmll: ; @_ZN2at6native12_GLOBAL__N_123philox_key_split_kernelEPKmPmll
; %bb.0:
	s_clause 0x1
	s_load_b128 s[4:7], s[0:1], 0x10
	s_load_b32 s2, s[0:1], 0x2c
	v_mov_b32_e32 v2, 0
	s_mov_b32 s18, 0
	s_delay_alu instid0(VALU_DEP_1)
	v_mov_b32_e32 v1, v2
	s_waitcnt lgkmcnt(0)
	s_mul_i32 s3, s6, s5
	s_mul_hi_u32 s8, s6, s4
	s_mul_i32 s7, s7, s4
	s_add_i32 s3, s8, s3
	s_delay_alu instid0(SALU_CYCLE_1)
	s_add_i32 s3, s3, s7
	s_add_u32 s8, s0, 32
	s_addc_u32 s9, s1, 0
	s_and_b32 s12, s2, 0xffff
	s_mul_i32 s2, s6, s4
	v_mad_u64_u32 v[4:5], null, s12, s15, v[0:1]
	s_mov_b32 s6, exec_lo
	s_delay_alu instid0(VALU_DEP_1)
	v_cmpx_gt_i64_e64 s[2:3], v[4:5]
	s_cbranch_execz .LBB0_7
; %bb.1:
	v_cvt_f32_u32_e32 v0, s4
	s_lshl_b64 s[6:7], s[4:5], 4
	s_load_b32 s13, s[8:9], 0x0
	s_sub_u32 s19, 0, s6
	s_subb_u32 s20, 0, s7
	v_rcp_iflag_f32_e32 v0, v0
	s_sub_i32 s6, 0, s4
	s_load_b128 s[8:11], s[0:1], 0x0
	s_ashr_i32 s14, s5, 31
	s_waitcnt_depctr 0xfff
	v_mul_f32_e32 v0, 0x4f7ffffe, v0
	s_delay_alu instid0(VALU_DEP_1) | instskip(SKIP_2) | instid1(VALU_DEP_1)
	v_cvt_u32_f32_e32 v3, v0
	s_waitcnt lgkmcnt(0)
	s_mul_hi_u32 s7, s12, s13
	v_mul_lo_u32 v0, s6, v3
	s_mul_i32 s6, s12, s13
	s_delay_alu instid0(SALU_CYCLE_1) | instskip(NEXT) | instid1(VALU_DEP_1)
	s_lshl_b64 s[12:13], s[6:7], 4
	v_mul_hi_u32 v6, v3, v0
	v_lshlrev_b64 v[0:1], 4, v[4:5]
	s_delay_alu instid0(VALU_DEP_2)
	v_add_nc_u32_e32 v8, v3, v6
	s_branch .LBB0_3
.LBB0_2:                                ;   in Loop: Header=BB0_3 Depth=1
	s_or_b32 exec_lo, exec_lo, s0
	s_delay_alu instid0(VALU_DEP_1) | instskip(NEXT) | instid1(VALU_DEP_2)
	v_mad_u64_u32 v[9:10], null, s19, v6, v[0:1]
	v_mul_lo_u32 v3, s19, v7
	v_mul_lo_u32 v11, s20, v6
	s_delay_alu instid0(VALU_DEP_3) | instskip(NEXT) | instid1(VALU_DEP_2)
	v_add_co_u32 v9, vcc_lo, s8, v9
	v_add3_u32 v3, v11, v10, v3
	s_delay_alu instid0(VALU_DEP_1)
	v_add_co_ci_u32_e32 v10, vcc_lo, s9, v3, vcc_lo
	global_load_b128 v[9:12], v[9:10], off
	s_waitcnt vmcnt(0)
	v_add_co_u32 v3, vcc_lo, v11, v6
	v_add_co_ci_u32_e32 v6, vcc_lo, v12, v7, vcc_lo
	v_add_nc_u32_e32 v13, 0xbb67ae85, v10
	s_delay_alu instid0(VALU_DEP_3) | instskip(SKIP_1) | instid1(VALU_DEP_4)
	v_mul_hi_u32 v7, 0xd2511f53, v3
	v_mul_lo_u32 v3, 0xd2511f53, v3
	v_xor_b32_e32 v6, v6, v9
	v_add_nc_u32_e32 v14, 0x9e3779b9, v9
	v_add_nc_u32_e32 v15, 0x76cf5d0a, v10
	v_add_co_u32 v4, vcc_lo, v4, s6
	s_delay_alu instid0(VALU_DEP_4) | instskip(SKIP_4) | instid1(VALU_DEP_4)
	v_mul_hi_u32 v11, 0xd2511f53, v6
	v_xor_b32_e32 v7, v7, v10
	v_mul_lo_u32 v6, 0xd2511f53, v6
	v_add_co_ci_u32_e32 v5, vcc_lo, s7, v5, vcc_lo
	v_add_nc_u32_e32 v16, 0x96a522ad, v10
	v_mul_hi_u32 v12, 0xcd9e8d57, v7
	v_mul_lo_u32 v7, 0xcd9e8d57, v7
	v_xor3_b32 v3, v3, v13, v11
	s_delay_alu instid0(VALU_DEP_3) | instskip(NEXT) | instid1(VALU_DEP_2)
	v_xor_b32_e32 v11, v14, v12
	v_mul_hi_u32 v12, 0xcd9e8d57, v3
	v_add_nc_u32_e32 v14, 0x3c6ef372, v9
	v_mul_lo_u32 v3, 0xcd9e8d57, v3
	s_delay_alu instid0(VALU_DEP_4) | instskip(SKIP_1) | instid1(VALU_DEP_4)
	v_mul_hi_u32 v13, 0xd2511f53, v11
	v_mul_lo_u32 v11, 0xd2511f53, v11
	v_xor3_b32 v7, v7, v14, v12
	v_add_nc_u32_e32 v14, 0x32370b8f, v10
	s_delay_alu instid0(VALU_DEP_4) | instskip(NEXT) | instid1(VALU_DEP_3)
	v_xor3_b32 v6, v6, v15, v13
	v_mul_hi_u32 v12, 0xd2511f53, v7
	v_add_nc_u32_e32 v15, 0xdaa66d2b, v9
	v_mul_lo_u32 v7, 0xd2511f53, v7
	s_delay_alu instid0(VALU_DEP_4) | instskip(SKIP_3) | instid1(VALU_DEP_4)
	v_mul_hi_u32 v13, 0xcd9e8d57, v6
	v_mul_lo_u32 v6, 0xcd9e8d57, v6
	v_xor3_b32 v11, v11, v14, v12
	v_add_nc_u32_e32 v14, 0x78dde6e4, v9
	v_xor3_b32 v3, v3, v15, v13
	s_delay_alu instid0(VALU_DEP_3) | instskip(SKIP_2) | instid1(VALU_DEP_4)
	v_mul_hi_u32 v12, 0xcd9e8d57, v11
	v_add_nc_u32_e32 v15, 0xed9eba14, v10
	v_mul_lo_u32 v11, 0xcd9e8d57, v11
	v_mul_hi_u32 v13, 0xd2511f53, v3
	v_mul_lo_u32 v3, 0xd2511f53, v3
	v_xor3_b32 v6, v6, v14, v12
	v_add_nc_u32_e32 v14, 0xa9066899, v10
	s_delay_alu instid0(VALU_DEP_4) | instskip(NEXT) | instid1(VALU_DEP_3)
	v_xor3_b32 v7, v7, v15, v13
	v_mul_hi_u32 v12, 0xd2511f53, v6
	v_add_nc_u32_e32 v15, 0x1715609d, v9
	v_mul_lo_u32 v6, 0xd2511f53, v6
	s_delay_alu instid0(VALU_DEP_4) | instskip(SKIP_3) | instid1(VALU_DEP_4)
	v_mul_hi_u32 v13, 0xcd9e8d57, v7
	v_mul_lo_u32 v7, 0xcd9e8d57, v7
	v_xor3_b32 v3, v3, v14, v12
	v_add_nc_u32_e32 v14, 0xb54cda56, v9
	v_xor3_b32 v11, v11, v15, v13
	s_delay_alu instid0(VALU_DEP_3) | instskip(SKIP_2) | instid1(VALU_DEP_4)
	v_mul_hi_u32 v12, 0xcd9e8d57, v3
	v_add_nc_u32_e32 v15, 0x646e171e, v10
	v_mul_lo_u32 v3, 0xcd9e8d57, v3
	v_mul_hi_u32 v13, 0xd2511f53, v11
	v_mul_lo_u32 v11, 0xd2511f53, v11
	v_xor3_b32 v7, v7, v14, v12
	v_add_nc_u32_e32 v14, 0x1fd5c5a3, v10
	s_delay_alu instid0(VALU_DEP_4) | instskip(NEXT) | instid1(VALU_DEP_3)
	v_xor3_b32 v6, v6, v15, v13
	v_mul_hi_u32 v12, 0xd2511f53, v7
	v_add_nc_u32_e32 v15, 0x5384540f, v9
	v_mul_lo_u32 v7, 0xd2511f53, v7
	s_delay_alu instid0(VALU_DEP_4)
	v_mul_hi_u32 v13, 0xcd9e8d57, v6
	v_mul_lo_u32 v6, 0xcd9e8d57, v6
	v_xor3_b32 v11, v11, v14, v12
	v_add_nc_u32_e32 v14, 0xf1bbcdc8, v9
	v_add_nc_u32_e32 v9, 0x8ff34781, v9
	v_xor3_b32 v3, v3, v15, v13
	s_delay_alu instid0(VALU_DEP_4) | instskip(SKIP_1) | instid1(VALU_DEP_3)
	v_mul_hi_u32 v12, 0xcd9e8d57, v11
	v_add_nc_u32_e32 v15, 0xdb3d7428, v10
	v_mul_hi_u32 v13, 0xd2511f53, v3
	v_mul_lo_u32 v3, 0xd2511f53, v3
	s_delay_alu instid0(VALU_DEP_4) | instskip(SKIP_3) | instid1(VALU_DEP_4)
	v_xor3_b32 v12, v6, v14, v12
	v_mul_lo_u32 v14, 0xcd9e8d57, v11
	v_add_co_u32 v6, vcc_lo, s10, v0
	v_xor3_b32 v13, v7, v15, v13
	v_mul_hi_u32 v11, 0xd2511f53, v12
	v_add_co_ci_u32_e32 v7, vcc_lo, s11, v1, vcc_lo
	v_cmp_le_i64_e32 vcc_lo, s[2:3], v[4:5]
	s_delay_alu instid0(VALU_DEP_4)
	v_mul_hi_u32 v15, 0xcd9e8d57, v13
	v_mul_lo_u32 v12, 0xd2511f53, v12
	v_mul_lo_u32 v10, 0xcd9e8d57, v13
	v_add_co_u32 v0, s0, v0, s12
	v_xor3_b32 v11, v3, v16, v11
	v_add_co_ci_u32_e64 v1, s0, s13, v1, s0
	v_xor3_b32 v9, v14, v9, v15
	s_or_b32 s18, vcc_lo, s18
	global_store_b128 v[6:7], v[9:12], off
	s_and_not1_b32 exec_lo, exec_lo, s18
	s_cbranch_execz .LBB0_7
.LBB0_3:                                ; =>This Inner Loop Header: Depth=1
	v_or_b32_e32 v3, s5, v5
                                        ; implicit-def: $vgpr6_vgpr7
	s_mov_b32 s0, exec_lo
	s_delay_alu instid0(VALU_DEP_1)
	v_cmpx_ne_u64_e32 0, v[2:3]
	s_xor_b32 s1, exec_lo, s0
	s_cbranch_execz .LBB0_5
; %bb.4:                                ;   in Loop: Header=BB0_3 Depth=1
	s_add_u32 s16, s4, s14
	s_mov_b32 s15, s14
	s_addc_u32 s17, s5, s14
	s_delay_alu instid0(SALU_CYCLE_1) | instskip(NEXT) | instid1(SALU_CYCLE_1)
	s_xor_b64 s[16:17], s[16:17], s[14:15]
	v_cvt_f32_u32_e32 v3, s16
	v_cvt_f32_u32_e32 v6, s17
	s_sub_u32 s0, 0, s16
	s_subb_u32 s15, 0, s17
	s_delay_alu instid0(VALU_DEP_1) | instskip(NEXT) | instid1(VALU_DEP_1)
	v_fmac_f32_e32 v3, 0x4f800000, v6
	v_rcp_f32_e32 v3, v3
	s_waitcnt_depctr 0xfff
	v_mul_f32_e32 v3, 0x5f7ffffc, v3
	s_delay_alu instid0(VALU_DEP_1) | instskip(NEXT) | instid1(VALU_DEP_1)
	v_mul_f32_e32 v6, 0x2f800000, v3
	v_trunc_f32_e32 v6, v6
	s_delay_alu instid0(VALU_DEP_1) | instskip(SKIP_1) | instid1(VALU_DEP_2)
	v_fmac_f32_e32 v3, 0xcf800000, v6
	v_cvt_u32_f32_e32 v6, v6
	v_cvt_u32_f32_e32 v3, v3
	s_delay_alu instid0(VALU_DEP_2) | instskip(NEXT) | instid1(VALU_DEP_2)
	v_mul_lo_u32 v7, s0, v6
	v_mul_hi_u32 v9, s0, v3
	v_mul_lo_u32 v10, s15, v3
	s_delay_alu instid0(VALU_DEP_2) | instskip(SKIP_1) | instid1(VALU_DEP_2)
	v_add_nc_u32_e32 v7, v9, v7
	v_mul_lo_u32 v9, s0, v3
	v_add_nc_u32_e32 v7, v7, v10
	s_delay_alu instid0(VALU_DEP_2) | instskip(NEXT) | instid1(VALU_DEP_2)
	v_mul_hi_u32 v10, v3, v9
	v_mul_lo_u32 v11, v3, v7
	v_mul_hi_u32 v12, v3, v7
	v_mul_hi_u32 v13, v6, v9
	v_mul_lo_u32 v9, v6, v9
	v_mul_hi_u32 v14, v6, v7
	v_mul_lo_u32 v7, v6, v7
	v_add_co_u32 v10, vcc_lo, v10, v11
	v_add_co_ci_u32_e32 v11, vcc_lo, 0, v12, vcc_lo
	s_delay_alu instid0(VALU_DEP_2) | instskip(NEXT) | instid1(VALU_DEP_2)
	v_add_co_u32 v9, vcc_lo, v10, v9
	v_add_co_ci_u32_e32 v9, vcc_lo, v11, v13, vcc_lo
	v_add_co_ci_u32_e32 v10, vcc_lo, 0, v14, vcc_lo
	v_ashrrev_i32_e32 v13, 31, v5
	s_delay_alu instid0(VALU_DEP_3) | instskip(NEXT) | instid1(VALU_DEP_3)
	v_add_co_u32 v7, vcc_lo, v9, v7
	v_add_co_ci_u32_e32 v9, vcc_lo, 0, v10, vcc_lo
	s_delay_alu instid0(VALU_DEP_2) | instskip(NEXT) | instid1(VALU_DEP_2)
	v_add_co_u32 v3, vcc_lo, v3, v7
	v_add_co_ci_u32_e32 v6, vcc_lo, v6, v9, vcc_lo
	s_delay_alu instid0(VALU_DEP_2) | instskip(SKIP_1) | instid1(VALU_DEP_3)
	v_mul_hi_u32 v7, s0, v3
	v_mul_lo_u32 v10, s15, v3
	v_mul_lo_u32 v9, s0, v6
	s_delay_alu instid0(VALU_DEP_1) | instskip(SKIP_1) | instid1(VALU_DEP_2)
	v_add_nc_u32_e32 v7, v7, v9
	v_mul_lo_u32 v9, s0, v3
	v_add_nc_u32_e32 v7, v7, v10
	s_delay_alu instid0(VALU_DEP_2) | instskip(NEXT) | instid1(VALU_DEP_2)
	v_mul_hi_u32 v10, v3, v9
	v_mul_lo_u32 v11, v3, v7
	v_mul_hi_u32 v12, v3, v7
	v_mul_hi_u32 v14, v6, v9
	v_mul_lo_u32 v9, v6, v9
	v_mul_hi_u32 v15, v6, v7
	v_mul_lo_u32 v7, v6, v7
	v_add_co_u32 v10, vcc_lo, v10, v11
	v_add_co_ci_u32_e32 v11, vcc_lo, 0, v12, vcc_lo
	s_delay_alu instid0(VALU_DEP_2) | instskip(NEXT) | instid1(VALU_DEP_2)
	v_add_co_u32 v9, vcc_lo, v10, v9
	v_add_co_ci_u32_e32 v9, vcc_lo, v11, v14, vcc_lo
	v_add_co_ci_u32_e32 v10, vcc_lo, 0, v15, vcc_lo
	v_add_co_u32 v11, vcc_lo, v4, v13
	v_add_co_ci_u32_e32 v12, vcc_lo, v5, v13, vcc_lo
	s_delay_alu instid0(VALU_DEP_4) | instskip(NEXT) | instid1(VALU_DEP_4)
	v_add_co_u32 v7, vcc_lo, v9, v7
	v_add_co_ci_u32_e32 v9, vcc_lo, 0, v10, vcc_lo
	s_delay_alu instid0(VALU_DEP_4) | instskip(NEXT) | instid1(VALU_DEP_3)
	v_xor_b32_e32 v14, v11, v13
	v_add_co_u32 v3, vcc_lo, v3, v7
	s_delay_alu instid0(VALU_DEP_3) | instskip(SKIP_1) | instid1(VALU_DEP_3)
	v_add_co_ci_u32_e32 v15, vcc_lo, v6, v9, vcc_lo
	v_xor_b32_e32 v16, v12, v13
	v_mul_hi_u32 v17, v14, v3
	s_delay_alu instid0(VALU_DEP_3) | instskip(NEXT) | instid1(VALU_DEP_3)
	v_mad_u64_u32 v[6:7], null, v14, v15, 0
	v_mad_u64_u32 v[9:10], null, v16, v3, 0
	;; [unrolled: 1-line block ×3, first 2 shown]
	s_delay_alu instid0(VALU_DEP_3) | instskip(NEXT) | instid1(VALU_DEP_4)
	v_add_co_u32 v3, vcc_lo, v17, v6
	v_add_co_ci_u32_e32 v6, vcc_lo, 0, v7, vcc_lo
	s_delay_alu instid0(VALU_DEP_2) | instskip(NEXT) | instid1(VALU_DEP_2)
	v_add_co_u32 v3, vcc_lo, v3, v9
	v_add_co_ci_u32_e32 v3, vcc_lo, v6, v10, vcc_lo
	v_add_co_ci_u32_e32 v6, vcc_lo, 0, v12, vcc_lo
	s_delay_alu instid0(VALU_DEP_2) | instskip(NEXT) | instid1(VALU_DEP_2)
	v_add_co_u32 v3, vcc_lo, v3, v11
	v_add_co_ci_u32_e32 v9, vcc_lo, 0, v6, vcc_lo
	s_delay_alu instid0(VALU_DEP_2) | instskip(SKIP_1) | instid1(VALU_DEP_3)
	v_mul_lo_u32 v10, s17, v3
	v_mad_u64_u32 v[6:7], null, s16, v3, 0
	v_mul_lo_u32 v11, s16, v9
	s_delay_alu instid0(VALU_DEP_2) | instskip(NEXT) | instid1(VALU_DEP_2)
	v_sub_co_u32 v6, vcc_lo, v14, v6
	v_add3_u32 v7, v7, v11, v10
	s_delay_alu instid0(VALU_DEP_1) | instskip(NEXT) | instid1(VALU_DEP_1)
	v_sub_nc_u32_e32 v10, v16, v7
	v_subrev_co_ci_u32_e64 v10, s0, s17, v10, vcc_lo
	v_add_co_u32 v11, s0, v3, 2
	s_delay_alu instid0(VALU_DEP_1) | instskip(SKIP_3) | instid1(VALU_DEP_3)
	v_add_co_ci_u32_e64 v12, s0, 0, v9, s0
	v_sub_co_u32 v14, s0, v6, s16
	v_sub_co_ci_u32_e32 v7, vcc_lo, v16, v7, vcc_lo
	v_subrev_co_ci_u32_e64 v10, s0, 0, v10, s0
	v_cmp_le_u32_e32 vcc_lo, s16, v14
	s_delay_alu instid0(VALU_DEP_3) | instskip(SKIP_1) | instid1(VALU_DEP_4)
	v_cmp_eq_u32_e64 s0, s17, v7
	v_cndmask_b32_e64 v14, 0, -1, vcc_lo
	v_cmp_le_u32_e32 vcc_lo, s17, v10
	v_cndmask_b32_e64 v15, 0, -1, vcc_lo
	v_cmp_le_u32_e32 vcc_lo, s16, v6
	;; [unrolled: 2-line block ×3, first 2 shown]
	v_cndmask_b32_e64 v16, 0, -1, vcc_lo
	v_cmp_eq_u32_e32 vcc_lo, s17, v10
	s_delay_alu instid0(VALU_DEP_2) | instskip(SKIP_3) | instid1(VALU_DEP_3)
	v_cndmask_b32_e64 v6, v16, v6, s0
	v_cndmask_b32_e32 v10, v15, v14, vcc_lo
	v_add_co_u32 v14, vcc_lo, v3, 1
	v_add_co_ci_u32_e32 v15, vcc_lo, 0, v9, vcc_lo
	v_cmp_ne_u32_e32 vcc_lo, 0, v10
	s_delay_alu instid0(VALU_DEP_2) | instskip(SKIP_2) | instid1(VALU_DEP_3)
	v_dual_cndmask_b32 v7, v15, v12 :: v_dual_cndmask_b32 v10, v14, v11
	v_cmp_ne_u32_e32 vcc_lo, 0, v6
	v_xor_b32_e32 v11, s14, v13
	v_dual_cndmask_b32 v6, v9, v7 :: v_dual_cndmask_b32 v3, v3, v10
	s_delay_alu instid0(VALU_DEP_1) | instskip(NEXT) | instid1(VALU_DEP_2)
	v_xor_b32_e32 v7, v6, v11
	v_xor_b32_e32 v3, v3, v11
	s_delay_alu instid0(VALU_DEP_1) | instskip(NEXT) | instid1(VALU_DEP_3)
	v_sub_co_u32 v6, vcc_lo, v3, v11
	v_sub_co_ci_u32_e32 v7, vcc_lo, v7, v11, vcc_lo
.LBB0_5:                                ;   in Loop: Header=BB0_3 Depth=1
	s_and_not1_saveexec_b32 s0, s1
	s_cbranch_execz .LBB0_2
; %bb.6:                                ;   in Loop: Header=BB0_3 Depth=1
	v_mul_hi_u32 v3, v4, v8
	s_delay_alu instid0(VALU_DEP_1) | instskip(NEXT) | instid1(VALU_DEP_1)
	v_mul_lo_u32 v6, v3, s4
	v_sub_nc_u32_e32 v6, v4, v6
	s_delay_alu instid0(VALU_DEP_1) | instskip(SKIP_1) | instid1(VALU_DEP_2)
	v_subrev_nc_u32_e32 v9, s4, v6
	v_cmp_le_u32_e32 vcc_lo, s4, v6
	v_dual_cndmask_b32 v6, v6, v9 :: v_dual_add_nc_u32 v7, 1, v3
	s_delay_alu instid0(VALU_DEP_1) | instskip(NEXT) | instid1(VALU_DEP_2)
	v_cndmask_b32_e32 v3, v3, v7, vcc_lo
	v_cmp_le_u32_e32 vcc_lo, s4, v6
	s_delay_alu instid0(VALU_DEP_2) | instskip(NEXT) | instid1(VALU_DEP_1)
	v_add_nc_u32_e32 v7, 1, v3
	v_dual_cndmask_b32 v6, v3, v7 :: v_dual_mov_b32 v7, v2
	s_branch .LBB0_2
.LBB0_7:
	s_nop 0
	s_sendmsg sendmsg(MSG_DEALLOC_VGPRS)
	s_endpgm
	.section	.rodata,"a",@progbits
	.p2align	6, 0x0
	.amdhsa_kernel _ZN2at6native12_GLOBAL__N_123philox_key_split_kernelEPKmPmll
		.amdhsa_group_segment_fixed_size 0
		.amdhsa_private_segment_fixed_size 0
		.amdhsa_kernarg_size 288
		.amdhsa_user_sgpr_count 15
		.amdhsa_user_sgpr_dispatch_ptr 0
		.amdhsa_user_sgpr_queue_ptr 0
		.amdhsa_user_sgpr_kernarg_segment_ptr 1
		.amdhsa_user_sgpr_dispatch_id 0
		.amdhsa_user_sgpr_private_segment_size 0
		.amdhsa_wavefront_size32 1
		.amdhsa_uses_dynamic_stack 0
		.amdhsa_enable_private_segment 0
		.amdhsa_system_sgpr_workgroup_id_x 1
		.amdhsa_system_sgpr_workgroup_id_y 0
		.amdhsa_system_sgpr_workgroup_id_z 0
		.amdhsa_system_sgpr_workgroup_info 0
		.amdhsa_system_vgpr_workitem_id 0
		.amdhsa_next_free_vgpr 18
		.amdhsa_next_free_sgpr 21
		.amdhsa_reserve_vcc 1
		.amdhsa_float_round_mode_32 0
		.amdhsa_float_round_mode_16_64 0
		.amdhsa_float_denorm_mode_32 3
		.amdhsa_float_denorm_mode_16_64 3
		.amdhsa_dx10_clamp 1
		.amdhsa_ieee_mode 1
		.amdhsa_fp16_overflow 0
		.amdhsa_workgroup_processor_mode 1
		.amdhsa_memory_ordered 1
		.amdhsa_forward_progress 0
		.amdhsa_shared_vgpr_count 0
		.amdhsa_exception_fp_ieee_invalid_op 0
		.amdhsa_exception_fp_denorm_src 0
		.amdhsa_exception_fp_ieee_div_zero 0
		.amdhsa_exception_fp_ieee_overflow 0
		.amdhsa_exception_fp_ieee_underflow 0
		.amdhsa_exception_fp_ieee_inexact 0
		.amdhsa_exception_int_div_zero 0
	.end_amdhsa_kernel
	.section	.text._ZN2at6native12_GLOBAL__N_123philox_key_split_kernelEPKmPmll,"axG",@progbits,_ZN2at6native12_GLOBAL__N_123philox_key_split_kernelEPKmPmll,comdat
.Lfunc_end0:
	.size	_ZN2at6native12_GLOBAL__N_123philox_key_split_kernelEPKmPmll, .Lfunc_end0-_ZN2at6native12_GLOBAL__N_123philox_key_split_kernelEPKmPmll
                                        ; -- End function
	.section	.AMDGPU.csdata,"",@progbits
; Kernel info:
; codeLenInByte = 2124
; NumSgprs: 23
; NumVgprs: 18
; ScratchSize: 0
; MemoryBound: 0
; FloatMode: 240
; IeeeMode: 1
; LDSByteSize: 0 bytes/workgroup (compile time only)
; SGPRBlocks: 2
; VGPRBlocks: 2
; NumSGPRsForWavesPerEU: 23
; NumVGPRsForWavesPerEU: 18
; Occupancy: 16
; WaveLimiterHint : 0
; COMPUTE_PGM_RSRC2:SCRATCH_EN: 0
; COMPUTE_PGM_RSRC2:USER_SGPR: 15
; COMPUTE_PGM_RSRC2:TRAP_HANDLER: 0
; COMPUTE_PGM_RSRC2:TGID_X_EN: 1
; COMPUTE_PGM_RSRC2:TGID_Y_EN: 0
; COMPUTE_PGM_RSRC2:TGID_Z_EN: 0
; COMPUTE_PGM_RSRC2:TIDIG_COMP_CNT: 0
	.section	.text._ZN2at6native12_GLOBAL__N_125philox_key_fold_in_kernelEPKmPmll,"axG",@progbits,_ZN2at6native12_GLOBAL__N_125philox_key_fold_in_kernelEPKmPmll,comdat
	.globl	_ZN2at6native12_GLOBAL__N_125philox_key_fold_in_kernelEPKmPmll ; -- Begin function _ZN2at6native12_GLOBAL__N_125philox_key_fold_in_kernelEPKmPmll
	.p2align	8
	.type	_ZN2at6native12_GLOBAL__N_125philox_key_fold_in_kernelEPKmPmll,@function
_ZN2at6native12_GLOBAL__N_125philox_key_fold_in_kernelEPKmPmll: ; @_ZN2at6native12_GLOBAL__N_125philox_key_fold_in_kernelEPKmPmll
; %bb.0:
	s_clause 0x1
	s_load_b32 s8, s[0:1], 0x2c
	s_load_b128 s[4:7], s[0:1], 0x10
	v_mov_b32_e32 v1, 0
	s_add_u32 s2, s0, 32
	s_addc_u32 s3, s1, 0
	s_mov_b32 s12, 0
	s_waitcnt lgkmcnt(0)
	s_and_b32 s13, s8, 0xffff
	s_mov_b32 s8, exec_lo
	v_mad_u64_u32 v[2:3], null, s13, s15, v[0:1]
	s_delay_alu instid0(VALU_DEP_1)
	v_cmpx_gt_i64_e64 s[4:5], v[2:3]
	s_cbranch_execz .LBB1_3
; %bb.1:
	s_load_b32 s2, s[2:3], 0x0
	s_load_b128 s[8:11], s[0:1], 0x0
	v_lshlrev_b64 v[0:1], 4, v[2:3]
	s_waitcnt lgkmcnt(0)
	s_mul_hi_u32 s3, s13, s2
	s_mul_i32 s2, s13, s2
	s_add_u32 s1, s10, 8
	s_addc_u32 s13, s11, 0
	s_lshl_b64 s[10:11], s[2:3], 4
.LBB1_2:                                ; =>This Inner Loop Header: Depth=1
	v_add_co_u32 v4, vcc_lo, s8, v0
	v_add_co_ci_u32_e32 v5, vcc_lo, s9, v1, vcc_lo
	global_load_b128 v[4:7], v[4:5], off
	s_waitcnt vmcnt(0)
	v_add_co_u32 v6, vcc_lo, v6, s6
	v_add_co_ci_u32_e32 v7, vcc_lo, s7, v7, vcc_lo
	v_add_nc_u32_e32 v11, 0xbb67ae85, v5
	s_delay_alu instid0(VALU_DEP_3) | instskip(SKIP_1) | instid1(VALU_DEP_4)
	v_mul_hi_u32 v8, 0xd2511f53, v6
	v_mul_lo_u32 v6, 0xd2511f53, v6
	v_xor_b32_e32 v7, v7, v4
	v_add_nc_u32_e32 v12, 0x9e3779b9, v4
	v_add_nc_u32_e32 v13, 0x76cf5d0a, v5
	;; [unrolled: 1-line block ×4, first 2 shown]
	v_mul_hi_u32 v9, 0xd2511f53, v7
	v_xor_b32_e32 v8, v8, v5
	v_mul_lo_u32 v7, 0xd2511f53, v7
	s_delay_alu instid0(VALU_DEP_2) | instskip(SKIP_2) | instid1(VALU_DEP_3)
	v_mul_hi_u32 v10, 0xcd9e8d57, v8
	v_mul_lo_u32 v8, 0xcd9e8d57, v8
	v_xor3_b32 v6, v6, v11, v9
	v_xor_b32_e32 v9, v12, v10
	s_delay_alu instid0(VALU_DEP_2) | instskip(SKIP_2) | instid1(VALU_DEP_4)
	v_mul_hi_u32 v10, 0xcd9e8d57, v6
	v_add_nc_u32_e32 v12, 0x3c6ef372, v4
	v_mul_lo_u32 v6, 0xcd9e8d57, v6
	v_mul_hi_u32 v11, 0xd2511f53, v9
	v_mul_lo_u32 v9, 0xd2511f53, v9
	s_delay_alu instid0(VALU_DEP_4) | instskip(SKIP_1) | instid1(VALU_DEP_4)
	v_xor3_b32 v8, v8, v12, v10
	v_add_nc_u32_e32 v12, 0x32370b8f, v5
	v_xor3_b32 v7, v7, v13, v11
	s_delay_alu instid0(VALU_DEP_3) | instskip(SKIP_1) | instid1(VALU_DEP_3)
	v_mul_hi_u32 v10, 0xd2511f53, v8
	v_add_nc_u32_e32 v13, 0xdaa66d2b, v4
	v_mul_hi_u32 v11, 0xcd9e8d57, v7
	v_mul_lo_u32 v7, 0xcd9e8d57, v7
	s_delay_alu instid0(VALU_DEP_4) | instskip(SKIP_3) | instid1(VALU_DEP_4)
	v_xor3_b32 v9, v9, v12, v10
	v_mul_lo_u32 v10, 0xd2511f53, v8
	v_add_co_u32 v8, vcc_lo, s1, v0
	v_xor3_b32 v6, v6, v13, v11
	v_mul_hi_u32 v11, 0xcd9e8d57, v9
	v_add_nc_u32_e32 v13, 0x78dde6e4, v4
	s_delay_alu instid0(VALU_DEP_3) | instskip(SKIP_1) | instid1(VALU_DEP_3)
	v_mul_hi_u32 v12, 0xd2511f53, v6
	v_mul_lo_u32 v6, 0xd2511f53, v6
	v_xor3_b32 v7, v7, v13, v11
	v_mul_lo_u32 v11, 0xcd9e8d57, v9
	v_add_co_ci_u32_e32 v9, vcc_lo, s13, v1, vcc_lo
	v_xor3_b32 v10, v10, v14, v12
	s_delay_alu instid0(VALU_DEP_4)
	v_mul_hi_u32 v12, 0xd2511f53, v7
	v_add_nc_u32_e32 v14, 0xa9066899, v5
	v_mul_lo_u32 v7, 0xd2511f53, v7
	v_add_co_u32 v2, vcc_lo, v2, s2
	v_mul_hi_u32 v13, 0xcd9e8d57, v10
	v_mul_lo_u32 v10, 0xcd9e8d57, v10
	v_add_co_ci_u32_e32 v3, vcc_lo, s3, v3, vcc_lo
	v_xor3_b32 v6, v6, v14, v12
	v_add_nc_u32_e32 v14, 0xb54cda56, v4
	v_add_co_u32 v0, vcc_lo, v0, s10
	v_xor3_b32 v11, v11, v15, v13
	s_delay_alu instid0(VALU_DEP_4)
	v_mul_hi_u32 v12, 0xcd9e8d57, v6
	v_add_nc_u32_e32 v15, 0x646e171e, v5
	v_mul_lo_u32 v6, 0xcd9e8d57, v6
	v_cmp_le_i64_e64 s0, s[4:5], v[2:3]
	v_mul_hi_u32 v13, 0xd2511f53, v11
	v_mul_lo_u32 v11, 0xd2511f53, v11
	v_add_co_ci_u32_e32 v1, vcc_lo, s11, v1, vcc_lo
	v_xor3_b32 v10, v10, v14, v12
	v_add_nc_u32_e32 v14, 0x1fd5c5a3, v5
	s_or_b32 s12, s0, s12
	v_xor3_b32 v7, v7, v15, v13
	s_delay_alu instid0(VALU_DEP_3) | instskip(SKIP_2) | instid1(VALU_DEP_4)
	v_mul_hi_u32 v12, 0xd2511f53, v10
	v_add_nc_u32_e32 v15, 0x5384540f, v4
	v_mul_lo_u32 v10, 0xd2511f53, v10
	v_mul_hi_u32 v13, 0xcd9e8d57, v7
	v_mul_lo_u32 v7, 0xcd9e8d57, v7
	v_xor3_b32 v11, v11, v14, v12
	v_add_nc_u32_e32 v14, 0xf1bbcdc8, v4
	v_add_nc_u32_e32 v4, 0x8ff34781, v4
	v_xor3_b32 v6, v6, v15, v13
	s_delay_alu instid0(VALU_DEP_4) | instskip(SKIP_2) | instid1(VALU_DEP_4)
	v_mul_hi_u32 v12, 0xcd9e8d57, v11
	v_add_nc_u32_e32 v15, 0xdb3d7428, v5
	v_mul_lo_u32 v11, 0xcd9e8d57, v11
	v_mul_hi_u32 v13, 0xd2511f53, v6
	v_mul_lo_u32 v6, 0xd2511f53, v6
	v_xor3_b32 v7, v7, v14, v12
	v_add_nc_u32_e32 v14, 0x96a522ad, v5
	s_delay_alu instid0(VALU_DEP_4) | instskip(NEXT) | instid1(VALU_DEP_3)
	v_xor3_b32 v10, v10, v15, v13
	v_mul_hi_u32 v12, 0xd2511f53, v7
	v_mul_lo_u32 v7, 0xd2511f53, v7
	s_delay_alu instid0(VALU_DEP_3) | instskip(SKIP_1) | instid1(VALU_DEP_4)
	v_mul_hi_u32 v13, 0xcd9e8d57, v10
	v_mul_lo_u32 v5, 0xcd9e8d57, v10
	v_xor3_b32 v6, v6, v14, v12
	s_delay_alu instid0(VALU_DEP_3)
	v_xor3_b32 v4, v11, v4, v13
	global_store_b128 v[8:9], v[4:7], off offset:-8
	s_and_not1_b32 exec_lo, exec_lo, s12
	s_cbranch_execnz .LBB1_2
.LBB1_3:
	s_nop 0
	s_sendmsg sendmsg(MSG_DEALLOC_VGPRS)
	s_endpgm
	.section	.rodata,"a",@progbits
	.p2align	6, 0x0
	.amdhsa_kernel _ZN2at6native12_GLOBAL__N_125philox_key_fold_in_kernelEPKmPmll
		.amdhsa_group_segment_fixed_size 0
		.amdhsa_private_segment_fixed_size 0
		.amdhsa_kernarg_size 288
		.amdhsa_user_sgpr_count 15
		.amdhsa_user_sgpr_dispatch_ptr 0
		.amdhsa_user_sgpr_queue_ptr 0
		.amdhsa_user_sgpr_kernarg_segment_ptr 1
		.amdhsa_user_sgpr_dispatch_id 0
		.amdhsa_user_sgpr_private_segment_size 0
		.amdhsa_wavefront_size32 1
		.amdhsa_uses_dynamic_stack 0
		.amdhsa_enable_private_segment 0
		.amdhsa_system_sgpr_workgroup_id_x 1
		.amdhsa_system_sgpr_workgroup_id_y 0
		.amdhsa_system_sgpr_workgroup_id_z 0
		.amdhsa_system_sgpr_workgroup_info 0
		.amdhsa_system_vgpr_workitem_id 0
		.amdhsa_next_free_vgpr 16
		.amdhsa_next_free_sgpr 16
		.amdhsa_reserve_vcc 1
		.amdhsa_float_round_mode_32 0
		.amdhsa_float_round_mode_16_64 0
		.amdhsa_float_denorm_mode_32 3
		.amdhsa_float_denorm_mode_16_64 3
		.amdhsa_dx10_clamp 1
		.amdhsa_ieee_mode 1
		.amdhsa_fp16_overflow 0
		.amdhsa_workgroup_processor_mode 1
		.amdhsa_memory_ordered 1
		.amdhsa_forward_progress 0
		.amdhsa_shared_vgpr_count 0
		.amdhsa_exception_fp_ieee_invalid_op 0
		.amdhsa_exception_fp_denorm_src 0
		.amdhsa_exception_fp_ieee_div_zero 0
		.amdhsa_exception_fp_ieee_overflow 0
		.amdhsa_exception_fp_ieee_underflow 0
		.amdhsa_exception_fp_ieee_inexact 0
		.amdhsa_exception_int_div_zero 0
	.end_amdhsa_kernel
	.section	.text._ZN2at6native12_GLOBAL__N_125philox_key_fold_in_kernelEPKmPmll,"axG",@progbits,_ZN2at6native12_GLOBAL__N_125philox_key_fold_in_kernelEPKmPmll,comdat
.Lfunc_end1:
	.size	_ZN2at6native12_GLOBAL__N_125philox_key_fold_in_kernelEPKmPmll, .Lfunc_end1-_ZN2at6native12_GLOBAL__N_125philox_key_fold_in_kernelEPKmPmll
                                        ; -- End function
	.section	.AMDGPU.csdata,"",@progbits
; Kernel info:
; codeLenInByte = 1040
; NumSgprs: 18
; NumVgprs: 16
; ScratchSize: 0
; MemoryBound: 0
; FloatMode: 240
; IeeeMode: 1
; LDSByteSize: 0 bytes/workgroup (compile time only)
; SGPRBlocks: 2
; VGPRBlocks: 1
; NumSGPRsForWavesPerEU: 18
; NumVGPRsForWavesPerEU: 16
; Occupancy: 16
; WaveLimiterHint : 0
; COMPUTE_PGM_RSRC2:SCRATCH_EN: 0
; COMPUTE_PGM_RSRC2:USER_SGPR: 15
; COMPUTE_PGM_RSRC2:TRAP_HANDLER: 0
; COMPUTE_PGM_RSRC2:TGID_X_EN: 1
; COMPUTE_PGM_RSRC2:TGID_Y_EN: 0
; COMPUTE_PGM_RSRC2:TGID_Z_EN: 0
; COMPUTE_PGM_RSRC2:TIDIG_COMP_CNT: 0
	.text
	.p2alignl 7, 3214868480
	.fill 96, 4, 3214868480
	.type	__hip_cuid_52dbae18a31be27e,@object ; @__hip_cuid_52dbae18a31be27e
	.section	.bss,"aw",@nobits
	.globl	__hip_cuid_52dbae18a31be27e
__hip_cuid_52dbae18a31be27e:
	.byte	0                               ; 0x0
	.size	__hip_cuid_52dbae18a31be27e, 1

	.ident	"AMD clang version 19.0.0git (https://github.com/RadeonOpenCompute/llvm-project roc-6.4.0 25133 c7fe45cf4b819c5991fe208aaa96edf142730f1d)"
	.section	".note.GNU-stack","",@progbits
	.addrsig
	.addrsig_sym __hip_cuid_52dbae18a31be27e
	.amdgpu_metadata
---
amdhsa.kernels:
  - .args:
      - .actual_access:  read_only
        .address_space:  global
        .offset:         0
        .size:           8
        .value_kind:     global_buffer
      - .actual_access:  write_only
        .address_space:  global
        .offset:         8
        .size:           8
        .value_kind:     global_buffer
      - .offset:         16
        .size:           8
        .value_kind:     by_value
      - .offset:         24
        .size:           8
        .value_kind:     by_value
      - .offset:         32
        .size:           4
        .value_kind:     hidden_block_count_x
      - .offset:         36
        .size:           4
        .value_kind:     hidden_block_count_y
      - .offset:         40
        .size:           4
        .value_kind:     hidden_block_count_z
      - .offset:         44
        .size:           2
        .value_kind:     hidden_group_size_x
      - .offset:         46
        .size:           2
        .value_kind:     hidden_group_size_y
      - .offset:         48
        .size:           2
        .value_kind:     hidden_group_size_z
      - .offset:         50
        .size:           2
        .value_kind:     hidden_remainder_x
      - .offset:         52
        .size:           2
        .value_kind:     hidden_remainder_y
      - .offset:         54
        .size:           2
        .value_kind:     hidden_remainder_z
      - .offset:         72
        .size:           8
        .value_kind:     hidden_global_offset_x
      - .offset:         80
        .size:           8
        .value_kind:     hidden_global_offset_y
      - .offset:         88
        .size:           8
        .value_kind:     hidden_global_offset_z
      - .offset:         96
        .size:           2
        .value_kind:     hidden_grid_dims
    .group_segment_fixed_size: 0
    .kernarg_segment_align: 8
    .kernarg_segment_size: 288
    .language:       OpenCL C
    .language_version:
      - 2
      - 0
    .max_flat_workgroup_size: 1024
    .name:           _ZN2at6native12_GLOBAL__N_123philox_key_split_kernelEPKmPmll
    .private_segment_fixed_size: 0
    .sgpr_count:     23
    .sgpr_spill_count: 0
    .symbol:         _ZN2at6native12_GLOBAL__N_123philox_key_split_kernelEPKmPmll.kd
    .uniform_work_group_size: 1
    .uses_dynamic_stack: false
    .vgpr_count:     18
    .vgpr_spill_count: 0
    .wavefront_size: 32
    .workgroup_processor_mode: 1
  - .args:
      - .actual_access:  read_only
        .address_space:  global
        .offset:         0
        .size:           8
        .value_kind:     global_buffer
      - .actual_access:  write_only
        .address_space:  global
        .offset:         8
        .size:           8
        .value_kind:     global_buffer
      - .offset:         16
        .size:           8
        .value_kind:     by_value
      - .offset:         24
        .size:           8
        .value_kind:     by_value
      - .offset:         32
        .size:           4
        .value_kind:     hidden_block_count_x
      - .offset:         36
        .size:           4
        .value_kind:     hidden_block_count_y
      - .offset:         40
        .size:           4
        .value_kind:     hidden_block_count_z
      - .offset:         44
        .size:           2
        .value_kind:     hidden_group_size_x
      - .offset:         46
        .size:           2
        .value_kind:     hidden_group_size_y
      - .offset:         48
        .size:           2
        .value_kind:     hidden_group_size_z
      - .offset:         50
        .size:           2
        .value_kind:     hidden_remainder_x
      - .offset:         52
        .size:           2
        .value_kind:     hidden_remainder_y
      - .offset:         54
        .size:           2
        .value_kind:     hidden_remainder_z
      - .offset:         72
        .size:           8
        .value_kind:     hidden_global_offset_x
      - .offset:         80
        .size:           8
        .value_kind:     hidden_global_offset_y
      - .offset:         88
        .size:           8
        .value_kind:     hidden_global_offset_z
      - .offset:         96
        .size:           2
        .value_kind:     hidden_grid_dims
    .group_segment_fixed_size: 0
    .kernarg_segment_align: 8
    .kernarg_segment_size: 288
    .language:       OpenCL C
    .language_version:
      - 2
      - 0
    .max_flat_workgroup_size: 1024
    .name:           _ZN2at6native12_GLOBAL__N_125philox_key_fold_in_kernelEPKmPmll
    .private_segment_fixed_size: 0
    .sgpr_count:     18
    .sgpr_spill_count: 0
    .symbol:         _ZN2at6native12_GLOBAL__N_125philox_key_fold_in_kernelEPKmPmll.kd
    .uniform_work_group_size: 1
    .uses_dynamic_stack: false
    .vgpr_count:     16
    .vgpr_spill_count: 0
    .wavefront_size: 32
    .workgroup_processor_mode: 1
amdhsa.target:   amdgcn-amd-amdhsa--gfx1100
amdhsa.version:
  - 1
  - 2
...

	.end_amdgpu_metadata
